;; amdgpu-corpus repo=ROCm/rocm-examples kind=compiled arch=gfx1250 opt=O3
	.amdgcn_target "amdgcn-amd-amdhsa--gfx1250"
	.amdhsa_code_object_version 6
	.section	.text._Z14moving_averageILj256ELj97EEvPKjPjj,"axG",@progbits,_Z14moving_averageILj256ELj97EEvPKjPjj,comdat
	.protected	_Z14moving_averageILj256ELj97EEvPKjPjj ; -- Begin function _Z14moving_averageILj256ELj97EEvPKjPjj
	.globl	_Z14moving_averageILj256ELj97EEvPKjPjj
	.p2align	8
	.type	_Z14moving_averageILj256ELj97EEvPKjPjj,@function
_Z14moving_averageILj256ELj97EEvPKjPjj: ; @_Z14moving_averageILj256ELj97EEvPKjPjj
; %bb.0:
	s_clause 0x2
	s_load_b32 s3, s[0:1], 0x24
	s_load_b128 s[4:7], s[0:1], 0x0
	s_load_b32 s2, s[0:1], 0x10
	s_wait_xcnt 0x0
	s_bfe_u32 s0, ttmp6, 0x4000c
	s_and_b32 s1, ttmp6, 15
	s_add_co_i32 s0, s0, 1
	s_getreg_b32 s8, hwreg(HW_REG_IB_STS2, 6, 4)
	s_mul_i32 s0, ttmp9, s0
	v_lshlrev_b32_e32 v1, 2, v0
	s_add_co_i32 s1, s1, s0
	s_wait_kmcnt 0x0
	s_and_b32 s0, s3, 0xffff
	s_cmp_eq_u32 s8, 0
	s_cselect_b32 s3, ttmp9, s1
	s_mov_b32 s1, 0
	s_mul_i32 s0, s3, s0
	s_mov_b32 s3, exec_lo
	v_cmpx_gt_u32_e32 0x160, v0
	s_cbranch_execz .LBB0_5
; %bb.1:
	v_dual_mov_b32 v2, v1 :: v_dual_mov_b32 v3, v0
	s_branch .LBB0_3
.LBB0_2:                                ;   in Loop: Header=BB0_3 Depth=1
	s_wait_xcnt 0x0
	s_or_b32 exec_lo, exec_lo, s8
	v_add_nc_u32_e32 v4, 0x100, v3
	v_cmp_lt_u32_e32 vcc_lo, 0x5f, v3
	s_delay_alu instid0(VALU_DEP_2) | instskip(SKIP_1) | instid1(SALU_CYCLE_1)
	v_dual_mov_b32 v3, v4 :: v_dual_add_nc_u32 v2, 0x400, v2
	s_or_b32 s1, vcc_lo, s1
	s_and_not1_b32 exec_lo, exec_lo, s1
	s_cbranch_execz .LBB0_5
.LBB0_3:                                ; =>This Inner Loop Header: Depth=1
	s_delay_alu instid0(VALU_DEP_1) | instskip(SKIP_1) | instid1(VALU_DEP_1)
	v_add_nc_u32_e32 v4, s0, v3
	s_mov_b32 s8, exec_lo
	v_cmpx_gt_u32_e64 s2, v4
	s_cbranch_execz .LBB0_2
; %bb.4:                                ;   in Loop: Header=BB0_3 Depth=1
	global_load_b32 v4, v4, s[4:5] scale_offset
	s_wait_loadcnt 0x0
	ds_store_b32 v2, v4
	s_branch .LBB0_2
.LBB0_5:
	s_or_b32 exec_lo, exec_lo, s3
	v_add_nc_u32_e32 v0, s0, v0
	s_addk_co_i32 s2, 0xffa0
	s_wait_dscnt 0x0
	s_barrier_signal -1
	s_barrier_wait -1
	s_mov_b32 s0, exec_lo
	v_cmpx_gt_u32_e64 s2, v0
	s_cbranch_execz .LBB0_7
; %bb.6:
	ds_load_2addr_b32 v[2:3], v1 offset0:2 offset1:3
	ds_load_2addr_b32 v[4:5], v1 offset1:1
	ds_load_2addr_b32 v[6:7], v1 offset0:6 offset1:7
	ds_load_2addr_b32 v[8:9], v1 offset0:4 offset1:5
	;; [unrolled: 1-line block ×8, first 2 shown]
	s_wait_dscnt 0x8
	v_dual_add_nc_u32 v22, v3, v5 :: v_dual_add_nc_u32 v23, v2, v4
	ds_load_2addr_b32 v[2:3], v1 offset0:22 offset1:23
	ds_load_2addr_b32 v[4:5], v1 offset0:20 offset1:21
	s_wait_dscnt 0x8
	v_add3_u32 v22, v9, v22, v7
	v_add3_u32 v23, v8, v23, v6
	ds_load_2addr_b32 v[6:7], v1 offset0:26 offset1:27
	ds_load_2addr_b32 v[8:9], v1 offset0:24 offset1:25
	s_wait_dscnt 0x8
	v_add3_u32 v22, v13, v22, v11
	v_add3_u32 v23, v12, v23, v10
	;; [unrolled: 5-line block ×18, first 2 shown]
	ds_load_2addr_b32 v[14:15], v1 offset0:94 offset1:95
	ds_load_2addr_b32 v[16:17], v1 offset0:92 offset1:93
	ds_load_b32 v1, v1 offset:384
	s_wait_dscnt 0x9
	v_add3_u32 v19, v21, v22, v19
	v_add3_u32 v18, v20, v23, v18
	s_wait_dscnt 0x7
	s_delay_alu instid0(VALU_DEP_2) | instskip(NEXT) | instid1(VALU_DEP_2)
	v_add3_u32 v3, v5, v19, v3
	v_add3_u32 v2, v4, v18, v2
	s_wait_dscnt 0x5
	s_delay_alu instid0(VALU_DEP_2) | instskip(NEXT) | instid1(VALU_DEP_2)
	;; [unrolled: 4-line block ×4, first 2 shown]
	v_add3_u32 v3, v17, v3, v15
	v_add3_u32 v2, v16, v2, v14
	s_wait_dscnt 0x0
	s_delay_alu instid0(VALU_DEP_1) | instskip(NEXT) | instid1(VALU_DEP_1)
	v_add3_u32 v1, v2, v3, v1
	v_mul_hi_u32 v2, 0x51d07eaf, v1
	s_delay_alu instid0(VALU_DEP_1) | instskip(NEXT) | instid1(VALU_DEP_1)
	v_sub_nc_u32_e32 v1, v1, v2
	v_lshrrev_b32_e32 v1, 1, v1
	s_delay_alu instid0(VALU_DEP_1) | instskip(NEXT) | instid1(VALU_DEP_1)
	v_add_nc_u32_e32 v1, v1, v2
	v_lshrrev_b32_e32 v1, 6, v1
	global_store_b32 v0, v1, s[6:7] scale_offset
.LBB0_7:
	s_endpgm
	.section	.rodata,"a",@progbits
	.p2align	6, 0x0
	.amdhsa_kernel _Z14moving_averageILj256ELj97EEvPKjPjj
		.amdhsa_group_segment_fixed_size 1408
		.amdhsa_private_segment_fixed_size 0
		.amdhsa_kernarg_size 280
		.amdhsa_user_sgpr_count 2
		.amdhsa_user_sgpr_dispatch_ptr 0
		.amdhsa_user_sgpr_queue_ptr 0
		.amdhsa_user_sgpr_kernarg_segment_ptr 1
		.amdhsa_user_sgpr_dispatch_id 0
		.amdhsa_user_sgpr_kernarg_preload_length 0
		.amdhsa_user_sgpr_kernarg_preload_offset 0
		.amdhsa_user_sgpr_private_segment_size 0
		.amdhsa_wavefront_size32 1
		.amdhsa_uses_dynamic_stack 0
		.amdhsa_enable_private_segment 0
		.amdhsa_system_sgpr_workgroup_id_x 1
		.amdhsa_system_sgpr_workgroup_id_y 0
		.amdhsa_system_sgpr_workgroup_id_z 0
		.amdhsa_system_sgpr_workgroup_info 0
		.amdhsa_system_vgpr_workitem_id 0
		.amdhsa_next_free_vgpr 24
		.amdhsa_next_free_sgpr 9
		.amdhsa_named_barrier_count 0
		.amdhsa_reserve_vcc 1
		.amdhsa_float_round_mode_32 0
		.amdhsa_float_round_mode_16_64 0
		.amdhsa_float_denorm_mode_32 3
		.amdhsa_float_denorm_mode_16_64 3
		.amdhsa_fp16_overflow 0
		.amdhsa_memory_ordered 1
		.amdhsa_forward_progress 1
		.amdhsa_inst_pref_size 10
		.amdhsa_round_robin_scheduling 0
		.amdhsa_exception_fp_ieee_invalid_op 0
		.amdhsa_exception_fp_denorm_src 0
		.amdhsa_exception_fp_ieee_div_zero 0
		.amdhsa_exception_fp_ieee_overflow 0
		.amdhsa_exception_fp_ieee_underflow 0
		.amdhsa_exception_fp_ieee_inexact 0
		.amdhsa_exception_int_div_zero 0
	.end_amdhsa_kernel
	.section	.text._Z14moving_averageILj256ELj97EEvPKjPjj,"axG",@progbits,_Z14moving_averageILj256ELj97EEvPKjPjj,comdat
.Lfunc_end0:
	.size	_Z14moving_averageILj256ELj97EEvPKjPjj, .Lfunc_end0-_Z14moving_averageILj256ELj97EEvPKjPjj
                                        ; -- End function
	.set _Z14moving_averageILj256ELj97EEvPKjPjj.num_vgpr, 24
	.set _Z14moving_averageILj256ELj97EEvPKjPjj.num_agpr, 0
	.set _Z14moving_averageILj256ELj97EEvPKjPjj.numbered_sgpr, 9
	.set _Z14moving_averageILj256ELj97EEvPKjPjj.num_named_barrier, 0
	.set _Z14moving_averageILj256ELj97EEvPKjPjj.private_seg_size, 0
	.set _Z14moving_averageILj256ELj97EEvPKjPjj.uses_vcc, 1
	.set _Z14moving_averageILj256ELj97EEvPKjPjj.uses_flat_scratch, 0
	.set _Z14moving_averageILj256ELj97EEvPKjPjj.has_dyn_sized_stack, 0
	.set _Z14moving_averageILj256ELj97EEvPKjPjj.has_recursion, 0
	.set _Z14moving_averageILj256ELj97EEvPKjPjj.has_indirect_call, 0
	.section	.AMDGPU.csdata,"",@progbits
; Kernel info:
; codeLenInByte = 1216
; TotalNumSgprs: 11
; NumVgprs: 24
; ScratchSize: 0
; MemoryBound: 0
; FloatMode: 240
; IeeeMode: 1
; LDSByteSize: 1408 bytes/workgroup (compile time only)
; SGPRBlocks: 0
; VGPRBlocks: 1
; NumSGPRsForWavesPerEU: 11
; NumVGPRsForWavesPerEU: 24
; NamedBarCnt: 0
; Occupancy: 16
; WaveLimiterHint : 0
; COMPUTE_PGM_RSRC2:SCRATCH_EN: 0
; COMPUTE_PGM_RSRC2:USER_SGPR: 2
; COMPUTE_PGM_RSRC2:TRAP_HANDLER: 0
; COMPUTE_PGM_RSRC2:TGID_X_EN: 1
; COMPUTE_PGM_RSRC2:TGID_Y_EN: 0
; COMPUTE_PGM_RSRC2:TGID_Z_EN: 0
; COMPUTE_PGM_RSRC2:TIDIG_COMP_CNT: 0
	.section	.AMDGPU.gpr_maximums,"",@progbits
	.set amdgpu.max_num_vgpr, 0
	.set amdgpu.max_num_agpr, 0
	.set amdgpu.max_num_sgpr, 0
	.section	.AMDGPU.csdata,"",@progbits
	.type	__hip_cuid_68ed493bb5607172,@object ; @__hip_cuid_68ed493bb5607172
	.section	.bss,"aw",@nobits
	.globl	__hip_cuid_68ed493bb5607172
__hip_cuid_68ed493bb5607172:
	.byte	0                               ; 0x0
	.size	__hip_cuid_68ed493bb5607172, 1

	.ident	"AMD clang version 22.0.0git (https://github.com/RadeonOpenCompute/llvm-project roc-7.2.4 26084 f58b06dce1f9c15707c5f808fd002e18c2accf7e)"
	.section	".note.GNU-stack","",@progbits
	.addrsig
	.addrsig_sym __hip_cuid_68ed493bb5607172
	.amdgpu_metadata
---
amdhsa.kernels:
  - .args:
      - .address_space:  global
        .offset:         0
        .size:           8
        .value_kind:     global_buffer
      - .address_space:  global
        .offset:         8
        .size:           8
        .value_kind:     global_buffer
      - .offset:         16
        .size:           4
        .value_kind:     by_value
      - .offset:         24
        .size:           4
        .value_kind:     hidden_block_count_x
      - .offset:         28
        .size:           4
        .value_kind:     hidden_block_count_y
      - .offset:         32
        .size:           4
        .value_kind:     hidden_block_count_z
      - .offset:         36
        .size:           2
        .value_kind:     hidden_group_size_x
      - .offset:         38
        .size:           2
        .value_kind:     hidden_group_size_y
      - .offset:         40
        .size:           2
        .value_kind:     hidden_group_size_z
      - .offset:         42
        .size:           2
        .value_kind:     hidden_remainder_x
      - .offset:         44
        .size:           2
        .value_kind:     hidden_remainder_y
      - .offset:         46
        .size:           2
        .value_kind:     hidden_remainder_z
      - .offset:         64
        .size:           8
        .value_kind:     hidden_global_offset_x
      - .offset:         72
        .size:           8
        .value_kind:     hidden_global_offset_y
      - .offset:         80
        .size:           8
        .value_kind:     hidden_global_offset_z
      - .offset:         88
        .size:           2
        .value_kind:     hidden_grid_dims
    .group_segment_fixed_size: 1408
    .kernarg_segment_align: 8
    .kernarg_segment_size: 280
    .language:       OpenCL C
    .language_version:
      - 2
      - 0
    .max_flat_workgroup_size: 1024
    .name:           _Z14moving_averageILj256ELj97EEvPKjPjj
    .private_segment_fixed_size: 0
    .sgpr_count:     11
    .sgpr_spill_count: 0
    .symbol:         _Z14moving_averageILj256ELj97EEvPKjPjj.kd
    .uniform_work_group_size: 1
    .uses_dynamic_stack: false
    .vgpr_count:     24
    .vgpr_spill_count: 0
    .wavefront_size: 32
amdhsa.target:   amdgcn-amd-amdhsa--gfx1250
amdhsa.version:
  - 1
  - 2
...

	.end_amdgpu_metadata
